;; amdgpu-corpus repo=zjin-lcf/HeCBench kind=compiled arch=gfx1250 opt=O3
	.amdgcn_target "amdgcn-amd-amdhsa--gfx1250"
	.amdhsa_code_object_version 6
	.text
	.protected	_Z22rotate_matrix_parallelPfi ; -- Begin function _Z22rotate_matrix_parallelPfi
	.globl	_Z22rotate_matrix_parallelPfi
	.p2align	8
	.type	_Z22rotate_matrix_parallelPfi,@function
_Z22rotate_matrix_parallelPfi:          ; @_Z22rotate_matrix_parallelPfi
; %bb.0:
	s_clause 0x1
	s_load_b32 s3, s[0:1], 0x1c
	s_load_b32 s2, s[0:1], 0x8
	s_bfe_u32 s4, ttmp6, 0x4000c
	s_and_b32 s5, ttmp6, 15
	s_add_co_i32 s4, s4, 1
	s_getreg_b32 s6, hwreg(HW_REG_IB_STS2, 6, 4)
	s_mul_i32 s4, ttmp9, s4
	s_delay_alu instid0(SALU_CYCLE_1) | instskip(SKIP_4) | instid1(SALU_CYCLE_1)
	s_add_co_i32 s5, s5, s4
	s_wait_kmcnt 0x0
	s_and_b32 s3, s3, 0xffff
	s_cmp_eq_u32 s6, 0
	s_cselect_b32 s4, ttmp9, s5
	s_mul_i32 s3, s4, s3
	s_lshr_b32 s4, s2, 31
	v_add_nc_u32_e32 v1, s3, v0
	s_add_co_i32 s4, s2, s4
	s_delay_alu instid0(SALU_CYCLE_1)
	s_ashr_i32 s4, s4, 1
	s_delay_alu instid0(VALU_DEP_1) | instid1(SALU_CYCLE_1)
	v_cmp_gt_i32_e32 vcc_lo, s4, v1
	s_and_saveexec_b32 s4, vcc_lo
	s_cbranch_execz .LBB0_4
; %bb.1:
	v_xad_u32 v4, v1, -1, s2
	s_delay_alu instid0(VALU_DEP_1)
	v_cmp_lt_i32_e32 vcc_lo, v1, v4
	s_and_b32 exec_lo, exec_lo, vcc_lo
	s_cbranch_execz .LBB0_4
; %bb.2:
	v_mul_lo_u32 v2, v1, s2
	s_load_b64 s[0:1], s[0:1], 0x0
	v_mul_lo_u32 v7, v4, s2
	v_sub_nc_u32_e32 v3, s2, v1
	v_not_b32_e32 v6, v1
	s_add_co_i32 s4, s2, -1
	s_delay_alu instid0(SALU_CYCLE_1) | instskip(NEXT) | instid1(VALU_DEP_2)
	v_mad_u32 v5, v1, s4, s4
	v_mad_u32 v6, s2, v3, v6
	v_add3_u32 v2, v0, v2, s3
	v_add3_u32 v0, v0, v7, s3
	s_mov_b32 s3, 0
	s_delay_alu instid0(VALU_DEP_2) | instskip(SKIP_1) | instid1(VALU_DEP_1)
	v_ashrrev_i32_e32 v3, 31, v2
	s_wait_kmcnt 0x0
	v_lshl_add_u64 v[2:3], v[2:3], 2, s[0:1]
.LBB0_3:                                ; =>This Inner Loop Header: Depth=1
	global_load_b32 v7, v0, s[0:1] scale_offset
	global_load_b32 v8, v[2:3], off
	v_add_nc_u32_e32 v1, 1, v1
	s_wait_loadcnt 0x1
	global_store_b32 v[2:3], v7, off
	global_load_b32 v7, v6, s[0:1] scale_offset
	v_add_nc_u64_e32 v[2:3], 4, v[2:3]
	s_wait_loadcnt 0x0
	s_clause 0x1
	global_store_b32 v0, v7, s[0:1] scale_offset
	global_load_b32 v7, v5, s[0:1] scale_offset
	v_subrev_nc_u32_e32 v0, s2, v0
	s_wait_loadcnt 0x0
	s_clause 0x1
	global_store_b32 v6, v7, s[0:1] scale_offset
	global_store_b32 v5, v8, s[0:1] scale_offset
	s_wait_xcnt 0x1
	v_add_nc_u32_e32 v6, -1, v6
	v_cmp_ge_i32_e32 vcc_lo, v1, v4
	s_wait_xcnt 0x0
	v_add_nc_u32_e32 v5, s2, v5
	s_or_b32 s3, vcc_lo, s3
	s_delay_alu instid0(SALU_CYCLE_1)
	s_and_not1_b32 exec_lo, exec_lo, s3
	s_cbranch_execnz .LBB0_3
.LBB0_4:
	s_endpgm
	.section	.rodata,"a",@progbits
	.p2align	6, 0x0
	.amdhsa_kernel _Z22rotate_matrix_parallelPfi
		.amdhsa_group_segment_fixed_size 0
		.amdhsa_private_segment_fixed_size 0
		.amdhsa_kernarg_size 272
		.amdhsa_user_sgpr_count 2
		.amdhsa_user_sgpr_dispatch_ptr 0
		.amdhsa_user_sgpr_queue_ptr 0
		.amdhsa_user_sgpr_kernarg_segment_ptr 1
		.amdhsa_user_sgpr_dispatch_id 0
		.amdhsa_user_sgpr_kernarg_preload_length 0
		.amdhsa_user_sgpr_kernarg_preload_offset 0
		.amdhsa_user_sgpr_private_segment_size 0
		.amdhsa_wavefront_size32 1
		.amdhsa_uses_dynamic_stack 0
		.amdhsa_enable_private_segment 0
		.amdhsa_system_sgpr_workgroup_id_x 1
		.amdhsa_system_sgpr_workgroup_id_y 0
		.amdhsa_system_sgpr_workgroup_id_z 0
		.amdhsa_system_sgpr_workgroup_info 0
		.amdhsa_system_vgpr_workitem_id 0
		.amdhsa_next_free_vgpr 9
		.amdhsa_next_free_sgpr 7
		.amdhsa_named_barrier_count 0
		.amdhsa_reserve_vcc 1
		.amdhsa_float_round_mode_32 0
		.amdhsa_float_round_mode_16_64 0
		.amdhsa_float_denorm_mode_32 3
		.amdhsa_float_denorm_mode_16_64 3
		.amdhsa_fp16_overflow 0
		.amdhsa_memory_ordered 1
		.amdhsa_forward_progress 1
		.amdhsa_inst_pref_size 4
		.amdhsa_round_robin_scheduling 0
		.amdhsa_exception_fp_ieee_invalid_op 0
		.amdhsa_exception_fp_denorm_src 0
		.amdhsa_exception_fp_ieee_div_zero 0
		.amdhsa_exception_fp_ieee_overflow 0
		.amdhsa_exception_fp_ieee_underflow 0
		.amdhsa_exception_fp_ieee_inexact 0
		.amdhsa_exception_int_div_zero 0
	.end_amdhsa_kernel
	.text
.Lfunc_end0:
	.size	_Z22rotate_matrix_parallelPfi, .Lfunc_end0-_Z22rotate_matrix_parallelPfi
                                        ; -- End function
	.set _Z22rotate_matrix_parallelPfi.num_vgpr, 9
	.set _Z22rotate_matrix_parallelPfi.num_agpr, 0
	.set _Z22rotate_matrix_parallelPfi.numbered_sgpr, 7
	.set _Z22rotate_matrix_parallelPfi.num_named_barrier, 0
	.set _Z22rotate_matrix_parallelPfi.private_seg_size, 0
	.set _Z22rotate_matrix_parallelPfi.uses_vcc, 1
	.set _Z22rotate_matrix_parallelPfi.uses_flat_scratch, 0
	.set _Z22rotate_matrix_parallelPfi.has_dyn_sized_stack, 0
	.set _Z22rotate_matrix_parallelPfi.has_recursion, 0
	.set _Z22rotate_matrix_parallelPfi.has_indirect_call, 0
	.section	.AMDGPU.csdata,"",@progbits
; Kernel info:
; codeLenInByte = 400
; TotalNumSgprs: 9
; NumVgprs: 9
; ScratchSize: 0
; MemoryBound: 0
; FloatMode: 240
; IeeeMode: 1
; LDSByteSize: 0 bytes/workgroup (compile time only)
; SGPRBlocks: 0
; VGPRBlocks: 0
; NumSGPRsForWavesPerEU: 9
; NumVGPRsForWavesPerEU: 9
; NamedBarCnt: 0
; Occupancy: 16
; WaveLimiterHint : 0
; COMPUTE_PGM_RSRC2:SCRATCH_EN: 0
; COMPUTE_PGM_RSRC2:USER_SGPR: 2
; COMPUTE_PGM_RSRC2:TRAP_HANDLER: 0
; COMPUTE_PGM_RSRC2:TGID_X_EN: 1
; COMPUTE_PGM_RSRC2:TGID_Y_EN: 0
; COMPUTE_PGM_RSRC2:TGID_Z_EN: 0
; COMPUTE_PGM_RSRC2:TIDIG_COMP_CNT: 0
	.text
	.p2alignl 7, 3214868480
	.fill 96, 4, 3214868480
	.section	.AMDGPU.gpr_maximums,"",@progbits
	.set amdgpu.max_num_vgpr, 0
	.set amdgpu.max_num_agpr, 0
	.set amdgpu.max_num_sgpr, 0
	.text
	.type	__hip_cuid_6450708a03def795,@object ; @__hip_cuid_6450708a03def795
	.section	.bss,"aw",@nobits
	.globl	__hip_cuid_6450708a03def795
__hip_cuid_6450708a03def795:
	.byte	0                               ; 0x0
	.size	__hip_cuid_6450708a03def795, 1

	.ident	"AMD clang version 22.0.0git (https://github.com/RadeonOpenCompute/llvm-project roc-7.2.4 26084 f58b06dce1f9c15707c5f808fd002e18c2accf7e)"
	.section	".note.GNU-stack","",@progbits
	.addrsig
	.addrsig_sym __hip_cuid_6450708a03def795
	.amdgpu_metadata
---
amdhsa.kernels:
  - .args:
      - .address_space:  global
        .offset:         0
        .size:           8
        .value_kind:     global_buffer
      - .offset:         8
        .size:           4
        .value_kind:     by_value
      - .offset:         16
        .size:           4
        .value_kind:     hidden_block_count_x
      - .offset:         20
        .size:           4
        .value_kind:     hidden_block_count_y
      - .offset:         24
        .size:           4
        .value_kind:     hidden_block_count_z
      - .offset:         28
        .size:           2
        .value_kind:     hidden_group_size_x
      - .offset:         30
        .size:           2
        .value_kind:     hidden_group_size_y
      - .offset:         32
        .size:           2
        .value_kind:     hidden_group_size_z
      - .offset:         34
        .size:           2
        .value_kind:     hidden_remainder_x
      - .offset:         36
        .size:           2
        .value_kind:     hidden_remainder_y
      - .offset:         38
        .size:           2
        .value_kind:     hidden_remainder_z
      - .offset:         56
        .size:           8
        .value_kind:     hidden_global_offset_x
      - .offset:         64
        .size:           8
        .value_kind:     hidden_global_offset_y
      - .offset:         72
        .size:           8
        .value_kind:     hidden_global_offset_z
      - .offset:         80
        .size:           2
        .value_kind:     hidden_grid_dims
    .group_segment_fixed_size: 0
    .kernarg_segment_align: 8
    .kernarg_segment_size: 272
    .language:       OpenCL C
    .language_version:
      - 2
      - 0
    .max_flat_workgroup_size: 1024
    .name:           _Z22rotate_matrix_parallelPfi
    .private_segment_fixed_size: 0
    .sgpr_count:     9
    .sgpr_spill_count: 0
    .symbol:         _Z22rotate_matrix_parallelPfi.kd
    .uniform_work_group_size: 1
    .uses_dynamic_stack: false
    .vgpr_count:     9
    .vgpr_spill_count: 0
    .wavefront_size: 32
amdhsa.target:   amdgcn-amd-amdhsa--gfx1250
amdhsa.version:
  - 1
  - 2
...

	.end_amdgpu_metadata
